;; amdgpu-corpus repo=ROCm/rocFFT kind=compiled arch=gfx950 opt=O3
	.text
	.amdgcn_target "amdgcn-amd-amdhsa--gfx950"
	.amdhsa_code_object_version 6
	.protected	fft_rtc_fwd_len968_factors_2_2_2_11_11_wgs_176_tpt_88_sp_ip_CI_unitstride_sbrr_dirReg ; -- Begin function fft_rtc_fwd_len968_factors_2_2_2_11_11_wgs_176_tpt_88_sp_ip_CI_unitstride_sbrr_dirReg
	.globl	fft_rtc_fwd_len968_factors_2_2_2_11_11_wgs_176_tpt_88_sp_ip_CI_unitstride_sbrr_dirReg
	.p2align	8
	.type	fft_rtc_fwd_len968_factors_2_2_2_11_11_wgs_176_tpt_88_sp_ip_CI_unitstride_sbrr_dirReg,@function
fft_rtc_fwd_len968_factors_2_2_2_11_11_wgs_176_tpt_88_sp_ip_CI_unitstride_sbrr_dirReg: ; @fft_rtc_fwd_len968_factors_2_2_2_11_11_wgs_176_tpt_88_sp_ip_CI_unitstride_sbrr_dirReg
; %bb.0:
	s_load_dwordx2 s[8:9], s[0:1], 0x50
	s_load_dwordx4 s[4:7], s[0:1], 0x0
	s_load_dwordx2 s[10:11], s[0:1], 0x18
	v_mul_u32_u24_e32 v1, 0x2e9, v0
	v_lshrrev_b32_e32 v30, 16, v1
	v_lshl_add_u32 v6, s2, 1, v30
	v_mov_b32_e32 v4, 0
	s_waitcnt lgkmcnt(0)
	v_cmp_lt_u64_e64 s[2:3], s[6:7], 2
	v_mov_b32_e32 v7, v4
	s_and_b64 vcc, exec, s[2:3]
	v_mov_b64_e32 v[2:3], 0
	s_cbranch_vccnz .LBB0_8
; %bb.1:
	s_load_dwordx2 s[2:3], s[0:1], 0x10
	s_add_u32 s12, s10, 8
	s_addc_u32 s13, s11, 0
	s_mov_b64 s[14:15], 1
	v_mov_b64_e32 v[2:3], 0
	s_waitcnt lgkmcnt(0)
	s_add_u32 s16, s2, 8
	s_addc_u32 s17, s3, 0
.LBB0_2:                                ; =>This Inner Loop Header: Depth=1
	s_load_dwordx2 s[18:19], s[16:17], 0x0
                                        ; implicit-def: $vgpr8_vgpr9
	s_waitcnt lgkmcnt(0)
	v_or_b32_e32 v5, s19, v7
	v_cmp_ne_u64_e32 vcc, 0, v[4:5]
	s_and_saveexec_b64 s[2:3], vcc
	s_xor_b64 s[20:21], exec, s[2:3]
	s_cbranch_execz .LBB0_4
; %bb.3:                                ;   in Loop: Header=BB0_2 Depth=1
	v_cvt_f32_u32_e32 v1, s18
	v_cvt_f32_u32_e32 v5, s19
	s_sub_u32 s2, 0, s18
	s_subb_u32 s3, 0, s19
	v_fmac_f32_e32 v1, 0x4f800000, v5
	v_rcp_f32_e32 v1, v1
	s_nop 0
	v_mul_f32_e32 v1, 0x5f7ffffc, v1
	v_mul_f32_e32 v5, 0x2f800000, v1
	v_trunc_f32_e32 v5, v5
	v_fmac_f32_e32 v1, 0xcf800000, v5
	v_cvt_u32_f32_e32 v5, v5
	v_cvt_u32_f32_e32 v1, v1
	v_mul_lo_u32 v8, s2, v5
	v_mul_hi_u32 v10, s2, v1
	v_mul_lo_u32 v9, s3, v1
	v_add_u32_e32 v10, v10, v8
	v_mul_lo_u32 v12, s2, v1
	v_add_u32_e32 v13, v10, v9
	v_mul_hi_u32 v8, v1, v12
	v_mul_hi_u32 v11, v1, v13
	v_mul_lo_u32 v10, v1, v13
	v_mov_b32_e32 v9, v4
	v_lshl_add_u64 v[8:9], v[8:9], 0, v[10:11]
	v_mul_hi_u32 v11, v5, v12
	v_mul_lo_u32 v12, v5, v12
	v_add_co_u32_e32 v8, vcc, v8, v12
	v_mul_hi_u32 v10, v5, v13
	s_nop 0
	v_addc_co_u32_e32 v8, vcc, v9, v11, vcc
	v_mov_b32_e32 v9, v4
	s_nop 0
	v_addc_co_u32_e32 v11, vcc, 0, v10, vcc
	v_mul_lo_u32 v10, v5, v13
	v_lshl_add_u64 v[8:9], v[8:9], 0, v[10:11]
	v_add_co_u32_e32 v1, vcc, v1, v8
	v_mul_lo_u32 v10, s2, v1
	s_nop 0
	v_addc_co_u32_e32 v5, vcc, v5, v9, vcc
	v_mul_lo_u32 v8, s2, v5
	v_mul_hi_u32 v9, s2, v1
	v_add_u32_e32 v8, v9, v8
	v_mul_lo_u32 v9, s3, v1
	v_add_u32_e32 v12, v8, v9
	v_mul_hi_u32 v14, v5, v10
	v_mul_lo_u32 v15, v5, v10
	v_mul_hi_u32 v9, v1, v12
	v_mul_lo_u32 v8, v1, v12
	v_mul_hi_u32 v10, v1, v10
	v_mov_b32_e32 v11, v4
	v_lshl_add_u64 v[8:9], v[10:11], 0, v[8:9]
	v_add_co_u32_e32 v8, vcc, v8, v15
	v_mul_hi_u32 v13, v5, v12
	s_nop 0
	v_addc_co_u32_e32 v8, vcc, v9, v14, vcc
	v_mul_lo_u32 v10, v5, v12
	s_nop 0
	v_addc_co_u32_e32 v11, vcc, 0, v13, vcc
	v_mov_b32_e32 v9, v4
	v_lshl_add_u64 v[8:9], v[8:9], 0, v[10:11]
	v_add_co_u32_e32 v1, vcc, v1, v8
	v_mul_hi_u32 v10, v6, v1
	s_nop 0
	v_addc_co_u32_e32 v5, vcc, v5, v9, vcc
	v_mad_u64_u32 v[8:9], s[2:3], v6, v5, 0
	v_mov_b32_e32 v11, v4
	v_lshl_add_u64 v[8:9], v[10:11], 0, v[8:9]
	v_mad_u64_u32 v[12:13], s[2:3], v7, v1, 0
	v_add_co_u32_e32 v1, vcc, v8, v12
	v_mad_u64_u32 v[10:11], s[2:3], v7, v5, 0
	s_nop 0
	v_addc_co_u32_e32 v8, vcc, v9, v13, vcc
	v_mov_b32_e32 v9, v4
	s_nop 0
	v_addc_co_u32_e32 v11, vcc, 0, v11, vcc
	v_lshl_add_u64 v[8:9], v[8:9], 0, v[10:11]
	v_mul_lo_u32 v1, s19, v8
	v_mul_lo_u32 v5, s18, v9
	v_mad_u64_u32 v[10:11], s[2:3], s18, v8, 0
	v_add3_u32 v1, v11, v5, v1
	v_sub_u32_e32 v5, v7, v1
	v_mov_b32_e32 v11, s19
	v_sub_co_u32_e32 v14, vcc, v6, v10
	v_lshl_add_u64 v[12:13], v[8:9], 0, 1
	s_nop 0
	v_subb_co_u32_e64 v5, s[2:3], v5, v11, vcc
	v_subrev_co_u32_e64 v10, s[2:3], s18, v14
	v_subb_co_u32_e32 v1, vcc, v7, v1, vcc
	s_nop 0
	v_subbrev_co_u32_e64 v5, s[2:3], 0, v5, s[2:3]
	v_cmp_le_u32_e64 s[2:3], s19, v5
	v_cmp_le_u32_e32 vcc, s19, v1
	s_nop 0
	v_cndmask_b32_e64 v11, 0, -1, s[2:3]
	v_cmp_le_u32_e64 s[2:3], s18, v10
	s_nop 1
	v_cndmask_b32_e64 v10, 0, -1, s[2:3]
	v_cmp_eq_u32_e64 s[2:3], s19, v5
	s_nop 1
	v_cndmask_b32_e64 v5, v11, v10, s[2:3]
	v_lshl_add_u64 v[10:11], v[8:9], 0, 2
	v_cmp_ne_u32_e64 s[2:3], 0, v5
	s_nop 1
	v_cndmask_b32_e64 v5, v13, v11, s[2:3]
	v_cndmask_b32_e64 v11, 0, -1, vcc
	v_cmp_le_u32_e32 vcc, s18, v14
	s_nop 1
	v_cndmask_b32_e64 v13, 0, -1, vcc
	v_cmp_eq_u32_e32 vcc, s19, v1
	s_nop 1
	v_cndmask_b32_e32 v1, v11, v13, vcc
	v_cmp_ne_u32_e32 vcc, 0, v1
	v_cndmask_b32_e64 v1, v12, v10, s[2:3]
	s_nop 0
	v_cndmask_b32_e32 v9, v9, v5, vcc
	v_cndmask_b32_e32 v8, v8, v1, vcc
.LBB0_4:                                ;   in Loop: Header=BB0_2 Depth=1
	s_andn2_saveexec_b64 s[2:3], s[20:21]
	s_cbranch_execz .LBB0_6
; %bb.5:                                ;   in Loop: Header=BB0_2 Depth=1
	v_cvt_f32_u32_e32 v1, s18
	s_sub_i32 s20, 0, s18
	v_rcp_iflag_f32_e32 v1, v1
	s_nop 0
	v_mul_f32_e32 v1, 0x4f7ffffe, v1
	v_cvt_u32_f32_e32 v1, v1
	v_mul_lo_u32 v5, s20, v1
	v_mul_hi_u32 v5, v1, v5
	v_add_u32_e32 v1, v1, v5
	v_mul_hi_u32 v1, v6, v1
	v_mul_lo_u32 v5, v1, s18
	v_sub_u32_e32 v5, v6, v5
	v_add_u32_e32 v8, 1, v1
	v_subrev_u32_e32 v9, s18, v5
	v_cmp_le_u32_e32 vcc, s18, v5
	s_nop 1
	v_cndmask_b32_e32 v5, v5, v9, vcc
	v_cndmask_b32_e32 v1, v1, v8, vcc
	v_add_u32_e32 v8, 1, v1
	v_cmp_le_u32_e32 vcc, s18, v5
	v_mov_b32_e32 v9, v4
	s_nop 0
	v_cndmask_b32_e32 v8, v1, v8, vcc
.LBB0_6:                                ;   in Loop: Header=BB0_2 Depth=1
	s_or_b64 exec, exec, s[2:3]
	v_mad_u64_u32 v[10:11], s[2:3], v8, s18, 0
	s_load_dwordx2 s[2:3], s[12:13], 0x0
	v_mul_lo_u32 v1, v9, s18
	v_mul_lo_u32 v5, v8, s19
	v_add3_u32 v1, v11, v5, v1
	v_sub_co_u32_e32 v5, vcc, v6, v10
	s_add_u32 s14, s14, 1
	s_nop 0
	v_subb_co_u32_e32 v1, vcc, v7, v1, vcc
	s_addc_u32 s15, s15, 0
	s_waitcnt lgkmcnt(0)
	v_mul_lo_u32 v1, s2, v1
	v_mul_lo_u32 v6, s3, v5
	v_mad_u64_u32 v[2:3], s[2:3], s2, v5, v[2:3]
	s_add_u32 s12, s12, 8
	v_add3_u32 v3, v6, v3, v1
	s_addc_u32 s13, s13, 0
	v_mov_b64_e32 v[6:7], s[6:7]
	s_add_u32 s16, s16, 8
	v_cmp_ge_u64_e32 vcc, s[14:15], v[6:7]
	s_addc_u32 s17, s17, 0
	s_cbranch_vccnz .LBB0_9
; %bb.7:                                ;   in Loop: Header=BB0_2 Depth=1
	v_mov_b64_e32 v[6:7], v[8:9]
	s_branch .LBB0_2
.LBB0_8:
	v_mov_b64_e32 v[8:9], v[6:7]
.LBB0_9:
	s_lshl_b64 s[2:3], s[6:7], 3
	s_add_u32 s2, s10, s2
	s_addc_u32 s3, s11, s3
	s_load_dwordx2 s[6:7], s[2:3], 0x0
	s_load_dwordx2 s[10:11], s[0:1], 0x20
	s_mov_b32 s2, 0x2e8ba2f
	v_mov_b32_e32 v22, 0
	v_mov_b32_e32 v20, 0
	s_waitcnt lgkmcnt(0)
	v_mul_lo_u32 v1, s6, v9
	v_mul_lo_u32 v4, s7, v8
	v_mad_u64_u32 v[2:3], s[0:1], s6, v8, v[2:3]
	v_add3_u32 v3, v4, v3, v1
	v_mul_hi_u32 v1, v0, s2
	v_mul_u32_u24_e32 v1, 0x58, v1
	v_cmp_gt_u64_e64 s[0:1], s[10:11], v[8:9]
	v_sub_u32_e32 v18, v0, v1
	v_lshl_add_u64 v[16:17], v[2:3], 3, s[8:9]
	v_mov_b32_e32 v23, v22
                                        ; implicit-def: $vgpr24
                                        ; implicit-def: $vgpr26
                                        ; implicit-def: $vgpr28
                                        ; implicit-def: $vgpr12
                                        ; implicit-def: $vgpr14
                                        ; implicit-def: $vgpr6
                                        ; implicit-def: $vgpr10
                                        ; implicit-def: $vgpr2
                                        ; implicit-def: $vgpr8
                                        ; implicit-def: $vgpr0
                                        ; implicit-def: $vgpr4
	s_and_saveexec_b64 s[2:3], s[0:1]
	s_cbranch_execz .LBB0_13
; %bb.10:
	v_mov_b32_e32 v19, 0
	v_lshl_add_u64 v[20:21], v[18:19], 3, v[16:17]
	v_add_co_u32_e32 v22, vcc, 0x1000, v20
                                        ; implicit-def: $vgpr25
	s_nop 1
	v_addc_co_u32_e32 v23, vcc, 0, v21, vcc
	global_load_dwordx2 v[14:15], v[22:23], off offset:480
	global_load_dwordx2 v[10:11], v[22:23], off offset:1184
	global_load_dwordx2 v[26:27], v[20:21], off
	global_load_dwordx2 v[12:13], v[20:21], off offset:704
	global_load_dwordx2 v[6:7], v[20:21], off offset:1408
	;; [unrolled: 1-line block ×7, first 2 shown]
	v_cmp_gt_u32_e32 vcc, 44, v18
	v_mov_b32_e32 v22, v19
	s_and_saveexec_b64 s[6:7], vcc
	s_cbranch_execz .LBB0_12
; %bb.11:
	v_add_co_u32_e32 v32, vcc, 0x1000, v20
	s_nop 1
	v_addc_co_u32_e32 v33, vcc, 0, v21, vcc
	global_load_dwordx2 v[22:23], v[20:21], off offset:3520
	global_load_dwordx2 v[24:25], v[32:33], off offset:3296
	s_waitcnt vmcnt(1)
	v_mov_b32_e32 v19, v23
.LBB0_12:
	s_or_b64 exec, exec, s[6:7]
	v_mov_b32_e32 v20, v18
	v_mov_b32_e32 v23, v19
.LBB0_13:
	s_or_b64 exec, exec, s[2:3]
	v_and_b32_e32 v19, 1, v30
	v_mov_b32_e32 v21, 0x3c8
	v_cmp_eq_u32_e32 vcc, 1, v19
	s_waitcnt vmcnt(3)
	v_pk_add_f32 v[28:29], v[26:27], v[28:29] neg_lo:[0,1] neg_hi:[0,1]
	v_add_u32_e32 v31, 0x58, v18
	v_cndmask_b32_e32 v19, 0, v21, vcc
	v_lshl_add_u32 v21, v18, 4, 0
	v_lshlrev_b32_e32 v32, 3, v19
	v_add_u32_e32 v19, v21, v32
	v_pk_fma_f32 v[26:27], v[26:27], 2.0, v[28:29] op_sel_hi:[1,0,1] neg_lo:[0,0,1] neg_hi:[0,0,1]
	ds_write2_b64 v19, v[26:27], v[28:29] offset1:1
	v_lshlrev_b32_e32 v19, 4, v31
	v_pk_add_f32 v[14:15], v[12:13], v[14:15] neg_lo:[0,1] neg_hi:[0,1]
	v_add3_u32 v19, 0, v19, v32
	v_pk_fma_f32 v[12:13], v[12:13], 2.0, v[14:15] op_sel_hi:[1,0,1] neg_lo:[0,0,1] neg_hi:[0,0,1]
	v_add_u32_e32 v35, 0xb0, v18
	ds_write2_b64 v19, v[12:13], v[14:15] offset1:1
	v_lshlrev_b32_e32 v12, 4, v35
	v_pk_add_f32 v[10:11], v[6:7], v[10:11] neg_lo:[0,1] neg_hi:[0,1]
	v_add3_u32 v12, 0, v12, v32
	v_pk_fma_f32 v[6:7], v[6:7], 2.0, v[10:11] op_sel_hi:[1,0,1] neg_lo:[0,0,1] neg_hi:[0,0,1]
	v_add_u32_e32 v36, 0x108, v18
	ds_write2_b64 v12, v[6:7], v[10:11] offset1:1
	v_lshlrev_b32_e32 v6, 4, v36
	v_add3_u32 v10, 0, v6, v32
	s_waitcnt vmcnt(1)
	v_pk_add_f32 v[6:7], v[2:3], v[8:9] neg_lo:[0,1] neg_hi:[0,1]
	v_add_u32_e32 v39, 0x160, v18
	v_pk_fma_f32 v[2:3], v[2:3], 2.0, v[6:7] op_sel_hi:[1,0,1] neg_lo:[0,0,1] neg_hi:[0,0,1]
	ds_write2_b64 v10, v[2:3], v[6:7] offset1:1
	v_lshlrev_b32_e32 v2, 4, v39
	s_waitcnt vmcnt(0)
	v_pk_add_f32 v[24:25], v[22:23], v[24:25] neg_lo:[0,1] neg_hi:[0,1]
	v_add3_u32 v6, 0, v2, v32
	v_pk_add_f32 v[2:3], v[0:1], v[4:5] neg_lo:[0,1] neg_hi:[0,1]
	v_pk_fma_f32 v[22:23], v[22:23], 2.0, v[24:25] op_sel_hi:[1,0,1] neg_lo:[0,0,1] neg_hi:[0,0,1]
	v_pk_fma_f32 v[0:1], v[0:1], 2.0, v[2:3] op_sel_hi:[1,0,1] neg_lo:[0,0,1] neg_hi:[0,0,1]
	v_add_u32_e32 v30, 0x1b8, v18
	v_cmp_gt_u32_e32 vcc, 44, v18
	ds_write2_b64 v6, v[0:1], v[2:3] offset1:1
	s_and_saveexec_b64 s[2:3], vcc
	s_cbranch_execz .LBB0_15
; %bb.14:
	v_lshlrev_b32_e32 v0, 4, v30
	v_add3_u32 v0, 0, v0, v32
	ds_write2_b64 v0, v[22:23], v[24:25] offset1:1
.LBB0_15:
	s_or_b64 exec, exec, s[2:3]
	v_lshlrev_b32_e32 v33, 3, v18
	v_sub_u32_e32 v0, v21, v33
	v_add_u32_e32 v21, v0, v32
	v_add_u32_e32 v0, 0xc00, v21
	;; [unrolled: 1-line block ×3, first 2 shown]
	s_waitcnt lgkmcnt(0)
	s_barrier
	ds_read2_b64 v[8:11], v0 offset0:100 offset1:188
	ds_read2_b64 v[0:3], v21 offset0:88 offset1:176
	;; [unrolled: 1-line block ×3, first 2 shown]
	v_add_u32_e32 v4, 0x800, v21
	v_add3_u32 v19, 0, v32, v33
	ds_read2_b64 v[4:7], v4 offset0:8 offset1:96
	ds_read_b64 v[26:27], v19
	ds_read_b64 v[28:29], v21 offset:6688
	v_lshlrev_b32_e32 v34, 1, v18
	v_lshlrev_b32_e32 v37, 1, v31
	;; [unrolled: 1-line block ×5, first 2 shown]
	s_and_saveexec_b64 s[2:3], vcc
	s_cbranch_execz .LBB0_17
; %bb.16:
	ds_read_b64 v[22:23], v21 offset:3520
	ds_read_b64 v[24:25], v21 offset:7392
.LBB0_17:
	s_or_b64 exec, exec, s[2:3]
	v_and_b32_e32 v31, 1, v18
	v_lshlrev_b32_e32 v39, 3, v31
	global_load_dwordx2 v[40:41], v39, s[4:5]
	s_movk_i32 s3, 0x1fc
	s_movk_i32 s6, 0x3fc
	v_and_or_b32 v43, v37, s3, v31
	v_and_or_b32 v44, v38, s6, v31
	;; [unrolled: 1-line block ×3, first 2 shown]
	s_waitcnt lgkmcnt(0)
	v_mov_b32_e32 v42, v25
	v_and_or_b32 v46, v35, s6, v31
	v_lshlrev_b32_e32 v43, 3, v43
	v_lshlrev_b32_e32 v44, 3, v44
	;; [unrolled: 1-line block ×4, first 2 shown]
	v_add3_u32 v56, 0, v43, v32
	v_add3_u32 v57, 0, v44, v32
	;; [unrolled: 1-line block ×3, first 2 shown]
	s_movk_i32 s2, 0xfc
	v_add3_u32 v59, 0, v46, v32
	v_and_or_b32 v39, v34, s2, v31
	v_lshlrev_b32_e32 v39, 3, v39
	v_add3_u32 v39, 0, v39, v32
	s_barrier
	s_waitcnt vmcnt(0)
	v_pk_mul_f32 v[42:43], v[42:43], v[40:41] op_sel_hi:[0,1]
	v_pk_mul_f32 v[44:45], v[40:41], v[8:9] op_sel:[0,1]
	v_pk_mul_f32 v[46:47], v[40:41], v[10:11] op_sel:[0,1]
	;; [unrolled: 1-line block ×5, first 2 shown]
	v_pk_fma_f32 v[54:55], v[24:25], v[40:41], v[42:43] op_sel:[0,0,1] op_sel_hi:[1,1,0] neg_lo:[0,0,1] neg_hi:[0,0,1]
	v_pk_fma_f32 v[24:25], v[24:25], v[40:41], v[42:43] op_sel:[0,0,1] op_sel_hi:[0,1,0]
	v_pk_fma_f32 v[42:43], v[40:41], v[8:9], v[44:45] op_sel:[0,0,1] op_sel_hi:[1,1,0] neg_lo:[0,0,1] neg_hi:[0,0,1]
	v_pk_fma_f32 v[8:9], v[40:41], v[8:9], v[44:45] op_sel:[0,0,1] op_sel_hi:[1,0,0]
	;; [unrolled: 2-line block ×6, first 2 shown]
	v_mov_b32_e32 v43, v9
	v_mov_b32_e32 v55, v25
	;; [unrolled: 1-line block ×6, first 2 shown]
	v_pk_add_f32 v[8:9], v[26:27], v[42:43] neg_lo:[0,1] neg_hi:[0,1]
	v_pk_add_f32 v[24:25], v[22:23], v[54:55] neg_lo:[0,1] neg_hi:[0,1]
	v_pk_add_f32 v[10:11], v[0:1], v[44:45] neg_lo:[0,1] neg_hi:[0,1]
	v_pk_add_f32 v[12:13], v[2:3], v[46:47] neg_lo:[0,1] neg_hi:[0,1]
	v_pk_add_f32 v[14:15], v[4:5], v[48:49] neg_lo:[0,1] neg_hi:[0,1]
	v_pk_add_f32 v[28:29], v[6:7], v[50:51] neg_lo:[0,1] neg_hi:[0,1]
	v_pk_fma_f32 v[26:27], v[26:27], 2.0, v[8:9] op_sel_hi:[1,0,1] neg_lo:[0,0,1] neg_hi:[0,0,1]
	v_pk_fma_f32 v[22:23], v[22:23], 2.0, v[24:25] op_sel_hi:[1,0,1] neg_lo:[0,0,1] neg_hi:[0,0,1]
	;; [unrolled: 1-line block ×6, first 2 shown]
	ds_write2_b64 v39, v[26:27], v[8:9] offset1:2
	ds_write2_b64 v56, v[0:1], v[10:11] offset1:2
	;; [unrolled: 1-line block ×5, first 2 shown]
	v_lshlrev_b32_e32 v39, 1, v30
	s_and_saveexec_b64 s[2:3], vcc
	s_cbranch_execz .LBB0_19
; %bb.18:
	v_and_or_b32 v0, v39, s6, v31
	v_lshlrev_b32_e32 v0, 3, v0
	v_add3_u32 v0, 0, v0, v32
	ds_write2_b64 v0, v[22:23], v[24:25] offset1:2
.LBB0_19:
	s_or_b64 exec, exec, s[2:3]
	v_add_u32_e32 v0, 0xc00, v21
	v_add_u32_e32 v4, 0x1000, v21
	s_waitcnt lgkmcnt(0)
	s_barrier
	ds_read2_b64 v[8:11], v0 offset0:100 offset1:188
	ds_read2_b64 v[0:3], v21 offset0:88 offset1:176
	;; [unrolled: 1-line block ×3, first 2 shown]
	v_add_u32_e32 v4, 0x800, v21
	ds_read2_b64 v[4:7], v4 offset0:8 offset1:96
	ds_read_b64 v[26:27], v19
	ds_read_b64 v[30:31], v21 offset:6688
	s_and_saveexec_b64 s[2:3], vcc
	s_cbranch_execz .LBB0_21
; %bb.20:
	ds_read_b64 v[22:23], v21 offset:3520
	ds_read_b64 v[24:25], v21 offset:7392
.LBB0_21:
	s_or_b64 exec, exec, s[2:3]
	v_and_b32_e32 v40, 3, v18
	v_lshlrev_b32_e32 v28, 3, v40
	global_load_dwordx2 v[28:29], v28, s[4:5] offset:16
	s_movk_i32 s2, 0xf8
	s_movk_i32 s6, 0x3f8
	;; [unrolled: 1-line block ×3, first 2 shown]
	v_and_or_b32 v34, v34, s2, v40
	v_and_or_b32 v35, v35, s6, v40
	;; [unrolled: 1-line block ×4, first 2 shown]
	v_lshlrev_b32_e32 v34, 3, v34
	v_lshlrev_b32_e32 v35, 3, v35
	;; [unrolled: 1-line block ×4, first 2 shown]
	v_add3_u32 v41, 0, v34, v32
	v_add3_u32 v52, 0, v35, v32
	;; [unrolled: 1-line block ×4, first 2 shown]
	v_and_or_b32 v38, v38, s6, v40
	v_lshlrev_b32_e32 v38, 3, v38
	s_waitcnt lgkmcnt(0)
	s_barrier
	v_add3_u32 v38, 0, v38, v32
	s_waitcnt vmcnt(0)
	v_pk_mul_f32 v[34:35], v[28:29], v[8:9] op_sel:[0,1]
	v_pk_mul_f32 v[36:37], v[28:29], v[10:11] op_sel:[0,1]
	;; [unrolled: 1-line block ×5, first 2 shown]
	v_pk_fma_f32 v[48:49], v[28:29], v[8:9], v[34:35] op_sel:[0,0,1] op_sel_hi:[1,1,0] neg_lo:[0,0,1] neg_hi:[0,0,1]
	v_pk_fma_f32 v[8:9], v[28:29], v[8:9], v[34:35] op_sel:[0,0,1] op_sel_hi:[1,0,0]
	v_pk_fma_f32 v[34:35], v[28:29], v[10:11], v[36:37] op_sel:[0,0,1] op_sel_hi:[1,1,0] neg_lo:[0,0,1] neg_hi:[0,0,1]
	v_pk_fma_f32 v[10:11], v[28:29], v[10:11], v[36:37] op_sel:[0,0,1] op_sel_hi:[1,0,0]
	;; [unrolled: 2-line block ×5, first 2 shown]
	v_mov_b32_e32 v49, v9
	v_mov_b32_e32 v35, v11
	;; [unrolled: 1-line block ×5, first 2 shown]
	v_pk_add_f32 v[8:9], v[26:27], v[48:49] neg_lo:[0,1] neg_hi:[0,1]
	v_pk_add_f32 v[10:11], v[0:1], v[34:35] neg_lo:[0,1] neg_hi:[0,1]
	;; [unrolled: 1-line block ×5, first 2 shown]
	v_pk_fma_f32 v[26:27], v[26:27], 2.0, v[8:9] op_sel_hi:[1,0,1] neg_lo:[0,0,1] neg_hi:[0,0,1]
	v_pk_fma_f32 v[0:1], v[0:1], 2.0, v[10:11] op_sel_hi:[1,0,1] neg_lo:[0,0,1] neg_hi:[0,0,1]
	;; [unrolled: 1-line block ×5, first 2 shown]
	ds_write2_b64 v41, v[26:27], v[8:9] offset1:4
	ds_write2_b64 v50, v[0:1], v[10:11] offset1:4
	;; [unrolled: 1-line block ×5, first 2 shown]
	s_and_saveexec_b64 s[2:3], vcc
	s_cbranch_execz .LBB0_23
; %bb.22:
	v_mov_b32_e32 v0, v25
	v_and_or_b32 v2, v39, s6, v40
	v_pk_mul_f32 v[0:1], v[0:1], v[28:29] op_sel_hi:[0,1]
	v_lshlrev_b32_e32 v2, 3, v2
	v_add3_u32 v4, 0, v2, v32
	v_pk_fma_f32 v[2:3], v[24:25], v[28:29], v[0:1] op_sel:[0,0,1] op_sel_hi:[1,1,0] neg_lo:[0,0,1] neg_hi:[0,0,1]
	v_pk_fma_f32 v[0:1], v[24:25], v[28:29], v[0:1] op_sel:[0,0,1] op_sel_hi:[0,1,0]
	v_mov_b32_e32 v3, v1
	v_pk_add_f32 v[0:1], v[22:23], v[2:3] neg_lo:[0,1] neg_hi:[0,1]
	s_nop 0
	v_pk_fma_f32 v[2:3], v[22:23], 2.0, v[0:1] op_sel_hi:[1,0,1] neg_lo:[0,0,1] neg_hi:[0,0,1]
	ds_write2_b64 v4, v[2:3], v[0:1] offset1:4
.LBB0_23:
	s_or_b64 exec, exec, s[2:3]
	v_and_b32_e32 v46, 7, v18
	v_mul_u32_u24_e32 v0, 10, v46
	v_lshlrev_b32_e32 v0, 3, v0
	s_waitcnt lgkmcnt(0)
	s_barrier
	global_load_dwordx4 v[2:5], v0, s[4:5] offset:64
	global_load_dwordx4 v[6:9], v0, s[4:5] offset:48
	;; [unrolled: 1-line block ×5, first 2 shown]
	v_add_u32_e32 v34, 0x800, v21
	v_add3_u32 v35, 0, v33, v32
	v_lshrrev_b32_e32 v0, 3, v18
	ds_read2_b64 v[38:41], v21 offset0:88 offset1:176
	ds_read2_b64 v[42:45], v34 offset0:8 offset1:96
	v_add_u32_e32 v36, 0xc00, v35
	v_mul_u32_u24_e32 v33, 0x58, v0
	ds_read_b64 v[0:1], v19
	ds_read_b64 v[14:15], v35 offset:7040
	ds_read2_b32 v[30:31], v36 offset0:112 offset1:113
	v_add_u32_e32 v37, 0x1000, v35
	v_add_u32_e32 v50, 0x1400, v35
	v_or_b32_e32 v33, v33, v46
	ds_read2_b64 v[46:49], v37 offset0:16 offset1:104
	ds_read2_b64 v[50:53], v50 offset0:64 offset1:152
	v_lshlrev_b32_e32 v33, 3, v33
	v_add3_u32 v128, 0, v33, v32
	s_waitcnt lgkmcnt(2)
	v_mov_b32_e32 v32, v31
	s_mov_b32 s2, 0xbf0a6770
	s_mov_b32 s3, 0x3f575c64
	;; [unrolled: 1-line block ×20, first 2 shown]
	s_waitcnt lgkmcnt(0)
	s_barrier
	s_mov_b32 s14, 0x3e903f40
	s_mov_b32 s40, s13
	;; [unrolled: 1-line block ×16, first 2 shown]
	s_movk_i32 s33, 0x1000
	s_waitcnt vmcnt(4)
	v_pk_mul_f32 v[54:55], v[2:3], v[42:43] op_sel:[0,1]
	s_waitcnt vmcnt(3)
	v_mul_f32_e32 v31, v7, v39
	v_mul_f32_e32 v33, v7, v38
	v_mov_b32_e32 v58, v9
	v_mov_b32_e32 v59, v8
	v_pk_mul_f32 v[56:57], v[4:5], v[44:45] op_sel:[0,1]
	s_waitcnt vmcnt(2)
	v_pk_mul_f32 v[60:61], v[32:33], v[10:11] op_sel_hi:[0,1]
	s_waitcnt vmcnt(1)
	v_pk_mul_f32 v[64:65], v[48:49], v[22:23] op_sel:[0,1]
	v_fma_f32 v32, v6, v38, -v31
	v_fmac_f32_e32 v33, v6, v39
	v_pk_mul_f32 v[6:7], v[58:59], v[40:41] op_sel:[0,1]
	v_pk_fma_f32 v[72:73], v[2:3], v[42:43], v[54:55] op_sel:[0,0,1] op_sel_hi:[1,1,0] neg_lo:[0,0,1] neg_hi:[0,0,1]
	v_pk_fma_f32 v[2:3], v[2:3], v[42:43], v[54:55] op_sel:[0,0,1] op_sel_hi:[1,0,0]
	v_pk_fma_f32 v[42:43], v[4:5], v[44:45], v[56:57] op_sel:[0,0,1] op_sel_hi:[1,1,0] neg_lo:[0,0,1] neg_hi:[0,0,1]
	v_pk_fma_f32 v[4:5], v[4:5], v[44:45], v[56:57] op_sel:[0,0,1] op_sel_hi:[1,0,0]
	;; [unrolled: 2-line block ×3, first 2 shown]
	v_pk_fma_f32 v[56:57], v[8:9], v[40:41], v[6:7] neg_lo:[0,0,1] neg_hi:[0,0,1]
	v_pk_fma_f32 v[6:7], v[8:9], v[40:41], v[6:7] op_sel_hi:[1,0,1]
	v_mov_b32_e32 v45, v23
	v_pk_add_f32 v[22:23], v[32:33], v[0:1]
	v_mov_b32_e32 v57, v7
	v_mov_b32_e32 v62, v13
	;; [unrolled: 1-line block ×3, first 2 shown]
	v_pk_add_f32 v[6:7], v[22:23], v[56:57]
	v_pk_fma_f32 v[38:39], v[10:11], v[30:31], v[60:61] op_sel:[0,0,1] op_sel_hi:[1,1,0] neg_lo:[0,0,1] neg_hi:[0,0,1]
	v_pk_fma_f32 v[10:11], v[10:11], v[30:31], v[60:61] op_sel:[0,0,1] op_sel_hi:[1,0,0]
	v_pk_mul_f32 v[30:31], v[46:47], v[62:63] op_sel_hi:[1,0]
	v_mov_b32_e32 v43, v5
	v_pk_add_f32 v[6:7], v[6:7], v[72:73]
	v_mov_b32_e32 v66, v25
	v_pk_fma_f32 v[8:9], v[46:47], v[12:13], v[30:31] op_sel:[0,0,1] op_sel_hi:[1,1,0] neg_lo:[0,0,1] neg_hi:[0,0,1]
	v_pk_fma_f32 v[12:13], v[46:47], v[12:13], v[30:31] op_sel:[0,0,1] op_sel_hi:[1,0,0]
	v_mov_b32_e32 v39, v11
	v_pk_add_f32 v[6:7], v[6:7], v[42:43]
	s_waitcnt vmcnt(0)
	v_pk_mul_f32 v[68:69], v[52:53], v[26:27] op_sel:[0,1]
	v_mov_b32_e32 v70, v29
	v_pk_mul_f32 v[48:49], v[50:51], v[66:67] op_sel_hi:[1,0]
	v_mov_b32_e32 v9, v13
	v_pk_add_f32 v[6:7], v[6:7], v[38:39]
	v_pk_fma_f32 v[54:55], v[52:53], v[26:27], v[68:69] op_sel:[0,0,1] op_sel_hi:[1,1,0] neg_lo:[0,0,1] neg_hi:[0,0,1]
	v_pk_fma_f32 v[26:27], v[52:53], v[26:27], v[68:69] op_sel:[0,0,1] op_sel_hi:[1,0,0]
	v_pk_mul_f32 v[52:53], v[14:15], v[70:71] op_sel_hi:[1,0]
	v_pk_fma_f32 v[4:5], v[50:51], v[24:25], v[48:49] op_sel:[0,0,1] op_sel_hi:[1,1,0] neg_lo:[0,0,1] neg_hi:[0,0,1]
	v_pk_fma_f32 v[2:3], v[50:51], v[24:25], v[48:49] op_sel:[0,0,1] op_sel_hi:[1,0,0]
	v_pk_add_f32 v[6:7], v[6:7], v[8:9]
	v_pk_fma_f32 v[10:11], v[14:15], v[28:29], v[52:53] op_sel:[0,0,1] op_sel_hi:[1,0,0] neg_lo:[0,0,1] neg_hi:[0,0,1]
	v_mov_b32_e32 v5, v3
	v_pk_add_f32 v[6:7], v[6:7], v[44:45]
	v_mov_b32_e32 v55, v27
	v_pk_fma_f32 v[14:15], v[14:15], v[28:29], v[52:53] op_sel:[0,0,1] op_sel_hi:[1,0,0]
	v_add_f32_e32 v40, v32, v10
	v_sub_f32_e32 v41, v32, v10
	v_pk_add_f32 v[50:51], v[72:73], v[4:5]
	v_pk_add_f32 v[22:23], v[72:73], v[4:5] neg_lo:[0,1] neg_hi:[0,1]
	v_pk_add_f32 v[4:5], v[6:7], v[4:5]
	v_mov_b32_e32 v11, v15
	v_add_f32_e32 v3, v33, v15
	v_sub_f32_e32 v2, v33, v15
	v_pk_add_f32 v[4:5], v[4:5], v[54:55]
	v_pk_mul_f32 v[6:7], v[40:41], s[20:21]
	v_pk_add_f32 v[48:49], v[56:57], v[54:55]
	v_pk_add_f32 v[12:13], v[56:57], v[54:55] neg_lo:[0,1] neg_hi:[0,1]
	v_pk_add_f32 v[52:53], v[38:39], v[8:9]
	v_pk_add_f32 v[56:57], v[38:39], v[8:9] neg_lo:[0,1] neg_hi:[0,1]
	v_pk_add_f32 v[38:39], v[4:5], v[10:11]
	v_pk_fma_f32 v[8:9], v[2:3], s[2:3], v[6:7] neg_lo:[1,0,0] neg_hi:[1,0,0]
	v_pk_fma_f32 v[4:5], v[2:3], s[2:3], v[6:7]
	v_pk_add_f32 v[46:47], v[42:43], v[44:45]
	v_mov_b32_e32 v9, v5
	v_pk_add_f32 v[14:15], v[8:9], v[0:1]
	v_mov_b32_e32 v9, v49
	v_mov_b32_e32 v49, v12
	;; [unrolled: 1-line block ×3, first 2 shown]
	v_pk_mul_f32 v[12:13], v[48:49], s[30:31]
	v_pk_add_f32 v[28:29], v[42:43], v[44:45] neg_lo:[0,1] neg_hi:[0,1]
	v_pk_fma_f32 v[24:25], v[8:9], s[6:7], v[12:13] neg_lo:[1,0,0] neg_hi:[1,0,0]
	v_pk_fma_f32 v[10:11], v[8:9], s[6:7], v[12:13]
	v_pk_mul_f32 v[58:59], v[48:49], s[24:25]
	v_mov_b32_e32 v25, v11
	v_pk_add_f32 v[26:27], v[24:25], v[14:15]
	v_mov_b32_e32 v15, v51
	v_mov_b32_e32 v51, v22
	;; [unrolled: 1-line block ×3, first 2 shown]
	v_pk_mul_f32 v[24:25], v[50:51], s[22:23]
	v_pk_fma_f32 v[60:61], v[8:9], s[10:11], v[58:59] neg_lo:[1,0,0] neg_hi:[1,0,0]
	v_pk_fma_f32 v[30:31], v[14:15], s[8:9], v[24:25] neg_lo:[1,0,0] neg_hi:[1,0,0]
	v_pk_fma_f32 v[22:23], v[14:15], s[8:9], v[24:25]
	v_pk_fma_f32 v[62:63], v[8:9], s[10:11], v[58:59]
	v_mov_b32_e32 v31, v23
	v_pk_add_f32 v[32:33], v[30:31], v[26:27]
	v_mov_b32_e32 v27, v47
	v_mov_b32_e32 v47, v28
	;; [unrolled: 1-line block ×3, first 2 shown]
	v_pk_mul_f32 v[30:31], v[46:47], s[24:25]
	v_mov_b32_e32 v61, v63
	v_pk_fma_f32 v[42:43], v[26:27], s[10:11], v[30:31] neg_lo:[1,0,0] neg_hi:[1,0,0]
	v_pk_fma_f32 v[28:29], v[26:27], s[10:11], v[30:31]
	v_pk_mul_f32 v[80:81], v[48:49], s[40:41]
	v_mov_b32_e32 v43, v29
	v_pk_add_f32 v[42:43], v[42:43], v[32:33]
	v_mov_b32_e32 v33, v53
	v_mov_b32_e32 v53, v56
	;; [unrolled: 1-line block ×3, first 2 shown]
	v_pk_mul_f32 v[44:45], v[52:53], s[28:29]
	v_pk_fma_f32 v[82:83], v[8:9], s[14:15], v[80:81] neg_lo:[1,0,0] neg_hi:[1,0,0]
	v_pk_fma_f32 v[54:55], v[32:33], s[12:13], v[44:45] neg_lo:[1,0,0] neg_hi:[1,0,0]
	v_pk_fma_f32 v[56:57], v[32:33], s[12:13], v[44:45]
	v_pk_fma_f32 v[84:85], v[8:9], s[14:15], v[80:81]
	v_mov_b32_e32 v55, v57
	v_pk_add_f32 v[42:43], v[54:55], v[42:43]
	ds_write2_b64 v128, v[38:39], v[42:43] offset1:8
	v_pk_mul_f32 v[38:39], v[40:41], s[30:31]
	v_mov_b32_e32 v83, v85
	v_pk_fma_f32 v[42:43], v[2:3], s[6:7], v[38:39] neg_lo:[1,0,0] neg_hi:[1,0,0]
	v_pk_fma_f32 v[54:55], v[2:3], s[6:7], v[38:39]
	v_pk_mul_f32 v[98:99], v[48:49], s[36:37]
	v_mov_b32_e32 v43, v55
	v_pk_add_f32 v[42:43], v[42:43], v[0:1]
	v_pk_fma_f32 v[100:101], v[8:9], s[16:17], v[98:99] neg_lo:[1,0,0] neg_hi:[1,0,0]
	v_pk_add_f32 v[42:43], v[60:61], v[42:43]
	v_pk_mul_f32 v[60:61], v[50:51], s[40:41]
	v_pk_fma_f32 v[102:103], v[8:9], s[16:17], v[98:99]
	v_pk_fma_f32 v[64:65], v[14:15], s[14:15], v[60:61] neg_lo:[1,0,0] neg_hi:[1,0,0]
	v_pk_fma_f32 v[66:67], v[14:15], s[14:15], v[60:61]
	v_mov_b32_e32 v101, v103
	v_mov_b32_e32 v65, v67
	v_pk_add_f32 v[42:43], v[64:65], v[42:43]
	v_pk_mul_f32 v[64:65], v[46:47], s[36:37]
	v_pk_mul_f32 v[48:49], v[48:49], s[34:35]
	v_pk_fma_f32 v[68:69], v[26:27], s[16:17], v[64:65] neg_lo:[1,0,0] neg_hi:[1,0,0]
	v_pk_fma_f32 v[70:71], v[26:27], s[16:17], v[64:65]
	v_pk_fma_f32 v[118:119], v[8:9], s[18:19], v[48:49] neg_lo:[1,0,0] neg_hi:[1,0,0]
	v_mov_b32_e32 v69, v71
	v_pk_add_f32 v[42:43], v[68:69], v[42:43]
	v_pk_mul_f32 v[68:69], v[52:53], s[34:35]
	v_pk_fma_f32 v[120:121], v[8:9], s[18:19], v[48:49]
	v_pk_fma_f32 v[72:73], v[32:33], s[18:19], v[68:69] neg_lo:[1,0,0] neg_hi:[1,0,0]
	v_pk_fma_f32 v[74:75], v[32:33], s[18:19], v[68:69]
	v_mov_b32_e32 v119, v121
	v_mov_b32_e32 v73, v75
	v_pk_add_f32 v[42:43], v[72:73], v[42:43]
	v_pk_mul_f32 v[72:73], v[40:41], s[22:23]
	v_pk_fma_f32 v[38:39], v[2:3], s[6:7], v[38:39] neg_lo:[0,0,1] neg_hi:[0,0,1]
	v_pk_fma_f32 v[76:77], v[2:3], s[8:9], v[72:73] neg_lo:[1,0,0] neg_hi:[1,0,0]
	v_pk_fma_f32 v[78:79], v[2:3], s[8:9], v[72:73]
	v_mov_b32_e32 v55, v39
	v_mov_b32_e32 v77, v79
	v_pk_add_f32 v[76:77], v[76:77], v[0:1]
	v_pk_fma_f32 v[38:39], v[8:9], s[10:11], v[58:59] neg_lo:[0,0,1] neg_hi:[0,0,1]
	v_pk_add_f32 v[76:77], v[82:83], v[76:77]
	v_pk_mul_f32 v[82:83], v[50:51], s[38:39]
	v_mov_b32_e32 v63, v39
	v_pk_fma_f32 v[86:87], v[14:15], s[26:27], v[82:83] neg_lo:[1,0,0] neg_hi:[1,0,0]
	v_pk_fma_f32 v[88:89], v[14:15], s[26:27], v[82:83]
	v_pk_add_f32 v[38:39], v[54:55], v[0:1]
	v_mov_b32_e32 v87, v89
	v_pk_add_f32 v[76:77], v[86:87], v[76:77]
	v_pk_mul_f32 v[86:87], v[46:47], s[20:21]
	v_pk_add_f32 v[38:39], v[62:63], v[38:39]
	v_pk_fma_f32 v[90:91], v[26:27], s[2:3], v[86:87] neg_lo:[1,0,0] neg_hi:[1,0,0]
	v_pk_fma_f32 v[92:93], v[26:27], s[2:3], v[86:87]
	s_nop 0
	v_mov_b32_e32 v91, v93
	v_pk_add_f32 v[76:77], v[90:91], v[76:77]
	v_pk_mul_f32 v[90:91], v[52:53], s[24:25]
	s_nop 0
	v_pk_fma_f32 v[94:95], v[32:33], s[10:11], v[90:91] neg_lo:[1,0,0] neg_hi:[1,0,0]
	v_pk_fma_f32 v[96:97], v[32:33], s[10:11], v[90:91]
	s_nop 0
	v_mov_b32_e32 v95, v97
	v_pk_add_f32 v[76:77], v[94:95], v[76:77]
	ds_write2_b64 v128, v[42:43], v[76:77] offset0:16 offset1:24
	v_pk_mul_f32 v[42:43], v[40:41], s[24:25]
	v_pk_mul_f32 v[40:41], v[40:41], s[28:29]
	v_pk_fma_f32 v[76:77], v[2:3], s[10:11], v[42:43] neg_lo:[1,0,0] neg_hi:[1,0,0]
	v_pk_fma_f32 v[94:95], v[2:3], s[10:11], v[42:43]
	v_pk_fma_f32 v[116:117], v[2:3], s[12:13], v[40:41]
	v_mov_b32_e32 v77, v95
	v_pk_add_f32 v[76:77], v[76:77], v[0:1]
	v_pk_fma_f32 v[42:43], v[2:3], s[10:11], v[42:43] neg_lo:[0,0,1] neg_hi:[0,0,1]
	v_pk_add_f32 v[76:77], v[100:101], v[76:77]
	v_pk_mul_f32 v[100:101], v[50:51], s[20:21]
	v_pk_mul_f32 v[50:51], v[50:51], s[24:25]
	v_pk_fma_f32 v[104:105], v[14:15], s[2:3], v[100:101] neg_lo:[1,0,0] neg_hi:[1,0,0]
	v_pk_fma_f32 v[106:107], v[14:15], s[2:3], v[100:101]
	v_pk_fma_f32 v[122:123], v[14:15], s[10:11], v[50:51]
	v_mov_b32_e32 v105, v107
	v_pk_add_f32 v[76:77], v[104:105], v[76:77]
	v_pk_mul_f32 v[104:105], v[46:47], s[28:29]
	v_pk_mul_f32 v[46:47], v[46:47], s[38:39]
	v_pk_fma_f32 v[108:109], v[26:27], s[12:13], v[104:105] neg_lo:[1,0,0] neg_hi:[1,0,0]
	v_pk_fma_f32 v[110:111], v[26:27], s[12:13], v[104:105]
	v_pk_fma_f32 v[124:125], v[26:27], s[26:27], v[46:47]
	v_mov_b32_e32 v109, v111
	;; [unrolled: 7-line block ×3, first 2 shown]
	v_pk_add_f32 v[76:77], v[112:113], v[76:77]
	v_pk_fma_f32 v[112:113], v[2:3], s[12:13], v[40:41] neg_lo:[1,0,0] neg_hi:[1,0,0]
	v_pk_fma_f32 v[40:41], v[2:3], s[12:13], v[40:41] neg_lo:[0,0,1] neg_hi:[0,0,1]
	v_mov_b32_e32 v113, v117
	v_pk_add_f32 v[112:113], v[112:113], v[0:1]
	v_mov_b32_e32 v117, v41
	v_pk_add_f32 v[112:113], v[118:119], v[112:113]
	v_pk_fma_f32 v[118:119], v[14:15], s[10:11], v[50:51] neg_lo:[1,0,0] neg_hi:[1,0,0]
	v_pk_fma_f32 v[40:41], v[8:9], s[18:19], v[48:49] neg_lo:[0,0,1] neg_hi:[0,0,1]
	v_mov_b32_e32 v119, v123
	v_pk_add_f32 v[112:113], v[118:119], v[112:113]
	v_pk_fma_f32 v[118:119], v[26:27], s[26:27], v[46:47] neg_lo:[1,0,0] neg_hi:[1,0,0]
	v_pk_fma_f32 v[46:47], v[26:27], s[26:27], v[46:47] neg_lo:[0,0,1] neg_hi:[0,0,1]
	v_mov_b32_e32 v119, v125
	v_pk_add_f32 v[112:113], v[118:119], v[112:113]
	v_pk_fma_f32 v[118:119], v[32:33], s[8:9], v[52:53] neg_lo:[1,0,0] neg_hi:[1,0,0]
	v_mov_b32_e32 v125, v47
	v_pk_fma_f32 v[46:47], v[32:33], s[8:9], v[52:53] neg_lo:[0,0,1] neg_hi:[0,0,1]
	v_mov_b32_e32 v95, v43
	;; [unrolled: 2-line block ×3, first 2 shown]
	v_mov_b32_e32 v121, v41
	v_pk_add_f32 v[40:41], v[116:117], v[0:1]
	v_pk_fma_f32 v[48:49], v[14:15], s[10:11], v[50:51] neg_lo:[0,0,1] neg_hi:[0,0,1]
	v_mov_b32_e32 v127, v47
	v_mov_b32_e32 v103, v43
	v_pk_add_f32 v[42:43], v[94:95], v[0:1]
	v_pk_fma_f32 v[46:47], v[14:15], s[2:3], v[100:101] neg_lo:[0,0,1] neg_hi:[0,0,1]
	v_pk_add_f32 v[40:41], v[120:121], v[40:41]
	v_mov_b32_e32 v123, v49
	v_pk_add_f32 v[42:43], v[102:103], v[42:43]
	v_mov_b32_e32 v107, v47
	v_pk_fma_f32 v[46:47], v[26:27], s[12:13], v[104:105] neg_lo:[0,0,1] neg_hi:[0,0,1]
	v_pk_add_f32 v[40:41], v[122:123], v[40:41]
	v_pk_add_f32 v[42:43], v[106:107], v[42:43]
	v_mov_b32_e32 v111, v47
	v_pk_fma_f32 v[46:47], v[32:33], s[26:27], v[108:109] neg_lo:[0,0,1] neg_hi:[0,0,1]
	v_pk_add_f32 v[40:41], v[124:125], v[40:41]
	v_pk_add_f32 v[42:43], v[110:111], v[42:43]
	v_mov_b32_e32 v115, v47
	v_pk_add_f32 v[40:41], v[126:127], v[40:41]
	v_pk_add_f32 v[42:43], v[114:115], v[42:43]
	ds_write2_b64 v128, v[40:41], v[42:43] offset0:48 offset1:56
	v_pk_fma_f32 v[42:43], v[14:15], s[26:27], v[82:83] neg_lo:[0,0,1] neg_hi:[0,0,1]
	v_pk_fma_f32 v[40:41], v[2:3], s[8:9], v[72:73] neg_lo:[0,0,1] neg_hi:[0,0,1]
	v_mov_b32_e32 v89, v43
	v_pk_fma_f32 v[42:43], v[26:27], s[2:3], v[86:87] neg_lo:[0,0,1] neg_hi:[0,0,1]
	v_pk_fma_f32 v[2:3], v[2:3], s[2:3], v[6:7] neg_lo:[0,0,1] neg_hi:[0,0,1]
	v_mov_b32_e32 v79, v41
	v_pk_fma_f32 v[40:41], v[8:9], s[14:15], v[80:81] neg_lo:[0,0,1] neg_hi:[0,0,1]
	v_mov_b32_e32 v93, v43
	;; [unrolled: 2-line block ×4, first 2 shown]
	v_pk_add_f32 v[40:41], v[78:79], v[0:1]
	v_mov_b32_e32 v97, v43
	v_pk_fma_f32 v[42:43], v[14:15], s[14:15], v[60:61] neg_lo:[0,0,1] neg_hi:[0,0,1]
	v_pk_add_f32 v[0:1], v[4:5], v[0:1]
	v_mov_b32_e32 v11, v3
	v_pk_fma_f32 v[2:3], v[14:15], s[8:9], v[24:25] neg_lo:[0,0,1] neg_hi:[0,0,1]
	;; [unrolled: 3-line block ×4, first 2 shown]
	v_pk_add_f32 v[40:41], v[88:89], v[40:41]
	v_pk_add_f32 v[38:39], v[66:67], v[38:39]
	v_mov_b32_e32 v71, v43
	v_pk_fma_f32 v[42:43], v[32:33], s[18:19], v[68:69] neg_lo:[0,0,1] neg_hi:[0,0,1]
	v_pk_add_f32 v[0:1], v[22:23], v[0:1]
	v_mov_b32_e32 v29, v3
	v_pk_fma_f32 v[2:3], v[32:33], s[12:13], v[44:45] neg_lo:[0,0,1] neg_hi:[0,0,1]
	v_pk_add_f32 v[40:41], v[92:93], v[40:41]
	v_pk_add_f32 v[38:39], v[70:71], v[38:39]
	v_mov_b32_e32 v75, v43
	v_pk_add_f32 v[0:1], v[28:29], v[0:1]
	v_mov_b32_e32 v57, v3
	v_pk_add_f32 v[112:113], v[118:119], v[112:113]
	v_pk_add_f32 v[40:41], v[96:97], v[40:41]
	v_pk_add_f32 v[38:39], v[74:75], v[38:39]
	v_pk_add_f32 v[0:1], v[56:57], v[0:1]
	ds_write2_b64 v128, v[76:77], v[112:113] offset0:32 offset1:40
	ds_write2_b64 v128, v[40:41], v[38:39] offset0:64 offset1:72
	ds_write_b64 v128, v[0:1] offset:640
	s_waitcnt lgkmcnt(0)
	s_barrier
	s_and_saveexec_b64 s[42:43], s[0:1]
	s_cbranch_execz .LBB0_25
; %bb.24:
	v_mul_u32_u24_e32 v0, 10, v18
	v_lshlrev_b32_e32 v0, 3, v0
	global_load_dwordx4 v[4:7], v0, s[4:5] offset:688
	global_load_dwordx4 v[8:11], v0, s[4:5] offset:752
	;; [unrolled: 1-line block ×5, first 2 shown]
	v_add_u32_e32 v2, 0x1800, v35
	ds_read2_b64 v[30:33], v21 offset0:88 offset1:176
	ds_read_b64 v[0:1], v19
	ds_read2_b64 v[38:41], v37 offset0:104 offset1:192
	ds_read2_b64 v[42:45], v34 offset0:8 offset1:96
	;; [unrolled: 1-line block ×4, first 2 shown]
	v_mov_b32_e32 v21, 0
	v_lshl_add_u64 v[2:3], v[20:21], 3, v[16:17]
	s_waitcnt vmcnt(4) lgkmcnt(5)
	v_mul_f32_e32 v17, v4, v31
	v_mul_f32_e32 v16, v5, v31
	s_waitcnt vmcnt(3) lgkmcnt(0)
	v_pk_mul_f32 v[18:19], v[10:11], v[48:49] op_sel:[0,1]
	v_pk_mul_f32 v[20:21], v[6:7], v[32:33] op_sel:[0,1]
	;; [unrolled: 1-line block ×3, first 2 shown]
	s_waitcnt vmcnt(2)
	v_pk_mul_f32 v[52:53], v[12:13], v[42:43] op_sel:[0,1]
	s_waitcnt vmcnt(1)
	v_pk_mul_f32 v[54:55], v[24:25], v[40:41] op_sel:[0,1]
	v_pk_mul_f32 v[56:57], v[14:15], v[44:45] op_sel:[0,1]
	v_fmac_f32_e32 v17, v5, v30
	v_fma_f32 v16, v4, v30, -v16
	v_pk_fma_f32 v[30:31], v[10:11], v[48:49], v[18:19] op_sel:[0,0,1] op_sel_hi:[1,0,0] neg_lo:[0,0,1] neg_hi:[0,0,1]
	v_pk_fma_f32 v[10:11], v[10:11], v[48:49], v[18:19] op_sel:[0,0,1] op_sel_hi:[1,0,0]
	v_pk_fma_f32 v[18:19], v[6:7], v[32:33], v[20:21] op_sel:[0,0,1] op_sel_hi:[1,1,0] neg_lo:[0,0,1] neg_hi:[0,0,1]
	v_pk_fma_f32 v[6:7], v[6:7], v[32:33], v[20:21] op_sel:[0,0,1] op_sel_hi:[1,0,0]
	;; [unrolled: 2-line block ×6, first 2 shown]
	v_pk_mul_f32 v[58:59], v[22:23], v[38:39] op_sel:[0,1]
	s_waitcnt vmcnt(0)
	v_pk_mul_f32 v[60:61], v[26:27], v[34:35] op_sel:[0,1]
	v_pk_mul_f32 v[62:63], v[28:29], v[36:37] op_sel:[0,1]
	v_mov_b32_e32 v19, v7
	v_mov_b32_e32 v33, v9
	;; [unrolled: 1-line block ×3, first 2 shown]
	v_pk_add_f32 v[14:15], v[16:17], v[0:1]
	v_pk_fma_f32 v[44:45], v[22:23], v[38:39], v[58:59] op_sel:[0,0,1] op_sel_hi:[1,1,0] neg_lo:[0,0,1] neg_hi:[0,0,1]
	v_pk_fma_f32 v[22:23], v[22:23], v[38:39], v[58:59] op_sel:[0,0,1] op_sel_hi:[1,0,0]
	v_pk_fma_f32 v[38:39], v[26:27], v[34:35], v[60:61] op_sel:[0,0,1] op_sel_hi:[1,1,0] neg_lo:[0,0,1] neg_hi:[0,0,1]
	v_pk_fma_f32 v[26:27], v[26:27], v[34:35], v[60:61] op_sel:[0,0,1] op_sel_hi:[1,0,0]
	;; [unrolled: 2-line block ×3, first 2 shown]
	v_add_f32_e32 v5, v11, v17
	v_sub_f32_e32 v37, v16, v30
	v_mov_b32_e32 v21, v13
	v_add_f32_e32 v36, v30, v16
	v_sub_f32_e32 v4, v17, v11
	v_pk_add_f32 v[12:13], v[32:33], v[18:19]
	v_pk_add_f32 v[16:17], v[18:19], v[32:33] neg_lo:[0,1] neg_hi:[0,1]
	v_pk_add_f32 v[18:19], v[14:15], v[18:19]
	v_mov_b32_e32 v45, v23
	v_pk_add_f32 v[18:19], v[18:19], v[20:21]
	v_mov_b32_e32 v43, v25
	v_mov_b32_e32 v39, v27
	v_mov_b32_e32 v35, v29
	v_pk_add_f32 v[8:9], v[44:45], v[40:41]
	v_pk_add_f32 v[24:25], v[40:41], v[44:45] neg_lo:[0,1] neg_hi:[0,1]
	v_pk_add_f32 v[40:41], v[18:19], v[40:41]
	v_pk_add_f32 v[6:7], v[34:35], v[38:39]
	v_pk_add_f32 v[26:27], v[38:39], v[34:35] neg_lo:[0,1] neg_hi:[0,1]
	v_pk_add_f32 v[38:39], v[40:41], v[38:39]
	v_mov_b32_e32 v31, v11
	v_pk_add_f32 v[34:35], v[34:35], v[38:39]
	v_pk_add_f32 v[10:11], v[42:43], v[20:21]
	;; [unrolled: 1-line block ×3, first 2 shown]
	v_pk_add_f32 v[22:23], v[20:21], v[42:43] neg_lo:[0,1] neg_hi:[0,1]
	v_pk_add_f32 v[34:35], v[42:43], v[34:35]
	v_pk_mul_f32 v[14:15], v[36:37], s[20:21]
	v_pk_add_f32 v[32:33], v[32:33], v[34:35]
	v_mov_b32_e32 v28, v12
	v_mov_b32_e32 v29, v16
	v_pk_add_f32 v[30:31], v[30:31], v[32:33]
	v_mov_b32_e32 v12, v17
	v_mov_b32_e32 v46, v10
	;; [unrolled: 1-line block ×9, first 2 shown]
	v_pk_mul_f32 v[48:49], v[28:29], s[30:31]
	global_store_dwordx2 v[2:3], v[30:31], off
	v_mov_b32_e32 v6, v27
	v_pk_fma_f32 v[26:27], v[4:5], s[2:3], v[14:15] neg_lo:[1,0,0] neg_hi:[1,0,0]
	v_pk_fma_f32 v[30:31], v[4:5], s[2:3], v[14:15]
	v_pk_fma_f32 v[32:33], v[12:13], s[6:7], v[48:49] neg_lo:[1,0,0] neg_hi:[1,0,0]
	v_mov_b32_e32 v27, v31
	v_pk_fma_f32 v[34:35], v[12:13], s[6:7], v[48:49]
	v_pk_mul_f32 v[20:21], v[46:47], s[22:23]
	v_pk_add_f32 v[26:27], v[26:27], v[0:1]
	v_mov_b32_e32 v33, v35
	v_pk_add_f32 v[26:27], v[26:27], v[32:33]
	v_pk_fma_f32 v[32:33], v[10:11], s[8:9], v[20:21] neg_lo:[1,0,0] neg_hi:[1,0,0]
	v_pk_fma_f32 v[38:39], v[10:11], s[8:9], v[20:21]
	v_pk_mul_f32 v[18:19], v[22:23], s[24:25]
	v_mov_b32_e32 v33, v39
	v_pk_add_f32 v[26:27], v[26:27], v[32:33]
	v_pk_fma_f32 v[32:33], v[8:9], s[10:11], v[18:19] neg_lo:[1,0,0] neg_hi:[1,0,0]
	v_pk_fma_f32 v[40:41], v[8:9], s[10:11], v[18:19]
	v_pk_mul_f32 v[16:17], v[24:25], s[28:29]
	;; [unrolled: 5-line block ×3, first 2 shown]
	v_mov_b32_e32 v33, v43
	v_pk_add_f32 v[26:27], v[26:27], v[32:33]
	global_store_dwordx2 v[2:3], v[26:27], off offset:704
	v_pk_mul_f32 v[26:27], v[36:37], s[30:31]
	v_pk_fma_f32 v[52:53], v[12:13], s[10:11], v[50:51] neg_lo:[1,0,0] neg_hi:[1,0,0]
	v_pk_fma_f32 v[32:33], v[4:5], s[6:7], v[26:27] neg_lo:[1,0,0] neg_hi:[1,0,0]
	v_pk_fma_f32 v[44:45], v[4:5], s[6:7], v[26:27]
	v_pk_fma_f32 v[54:55], v[12:13], s[10:11], v[50:51]
	v_mov_b32_e32 v33, v45
	v_pk_add_f32 v[32:33], v[32:33], v[0:1]
	v_mov_b32_e32 v53, v55
	v_pk_add_f32 v[32:33], v[32:33], v[52:53]
	v_pk_mul_f32 v[52:53], v[46:47], s[40:41]
	v_pk_mul_f32 v[68:69], v[46:47], s[38:39]
	v_pk_fma_f32 v[56:57], v[10:11], s[14:15], v[52:53] neg_lo:[1,0,0] neg_hi:[1,0,0]
	v_pk_fma_f32 v[58:59], v[10:11], s[14:15], v[52:53]
	v_pk_fma_f32 v[82:83], v[10:11], s[26:27], v[68:69]
	v_mov_b32_e32 v57, v59
	v_pk_add_f32 v[32:33], v[32:33], v[56:57]
	v_pk_mul_f32 v[56:57], v[22:23], s[36:37]
	v_pk_mul_f32 v[70:71], v[22:23], s[20:21]
	v_pk_fma_f32 v[60:61], v[8:9], s[16:17], v[56:57] neg_lo:[1,0,0] neg_hi:[1,0,0]
	v_pk_fma_f32 v[62:63], v[8:9], s[16:17], v[56:57]
	v_pk_fma_f32 v[84:85], v[8:9], s[2:3], v[70:71]
	;; [unrolled: 7-line block ×3, first 2 shown]
	v_mov_b32_e32 v65, v67
	v_pk_add_f32 v[32:33], v[32:33], v[64:65]
	global_store_dwordx2 v[2:3], v[32:33], off offset:1408
	v_pk_mul_f32 v[32:33], v[36:37], s[22:23]
	v_pk_mul_f32 v[64:65], v[28:29], s[40:41]
	v_pk_fma_f32 v[74:75], v[4:5], s[8:9], v[32:33] neg_lo:[1,0,0] neg_hi:[1,0,0]
	v_pk_fma_f32 v[76:77], v[4:5], s[8:9], v[32:33]
	v_pk_fma_f32 v[78:79], v[12:13], s[14:15], v[64:65] neg_lo:[1,0,0] neg_hi:[1,0,0]
	v_mov_b32_e32 v75, v77
	v_pk_fma_f32 v[80:81], v[12:13], s[14:15], v[64:65]
	v_pk_add_f32 v[74:75], v[74:75], v[0:1]
	v_mov_b32_e32 v79, v81
	v_pk_add_f32 v[74:75], v[74:75], v[78:79]
	v_pk_fma_f32 v[78:79], v[10:11], s[26:27], v[68:69] neg_lo:[1,0,0] neg_hi:[1,0,0]
	v_pk_mul_f32 v[90:91], v[28:29], s[36:37]
	v_mov_b32_e32 v79, v83
	v_pk_add_f32 v[74:75], v[74:75], v[78:79]
	v_pk_fma_f32 v[78:79], v[8:9], s[2:3], v[70:71] neg_lo:[1,0,0] neg_hi:[1,0,0]
	v_pk_fma_f32 v[92:93], v[12:13], s[16:17], v[90:91] neg_lo:[1,0,0] neg_hi:[1,0,0]
	v_mov_b32_e32 v79, v85
	v_pk_add_f32 v[74:75], v[74:75], v[78:79]
	v_pk_fma_f32 v[78:79], v[6:7], s[10:11], v[72:73] neg_lo:[1,0,0] neg_hi:[1,0,0]
	v_pk_fma_f32 v[94:95], v[12:13], s[16:17], v[90:91]
	v_mov_b32_e32 v79, v87
	v_pk_add_f32 v[74:75], v[74:75], v[78:79]
	global_store_dwordx2 v[2:3], v[74:75], off offset:2112
	v_pk_mul_f32 v[74:75], v[36:37], s[24:25]
	v_mov_b32_e32 v93, v95
	v_pk_fma_f32 v[78:79], v[4:5], s[10:11], v[74:75] neg_lo:[1,0,0] neg_hi:[1,0,0]
	v_pk_fma_f32 v[88:89], v[4:5], s[10:11], v[74:75]
	v_pk_mul_f32 v[36:37], v[36:37], s[28:29]
	v_mov_b32_e32 v79, v89
	v_pk_add_f32 v[78:79], v[78:79], v[0:1]
	v_pk_mul_f32 v[28:29], v[28:29], s[34:35]
	v_pk_add_f32 v[78:79], v[78:79], v[92:93]
	v_pk_mul_f32 v[92:93], v[46:47], s[20:21]
	v_pk_fma_f32 v[108:109], v[12:13], s[18:19], v[28:29] neg_lo:[1,0,0] neg_hi:[1,0,0]
	v_pk_fma_f32 v[96:97], v[10:11], s[2:3], v[92:93] neg_lo:[1,0,0] neg_hi:[1,0,0]
	v_pk_fma_f32 v[98:99], v[10:11], s[2:3], v[92:93]
	v_pk_fma_f32 v[110:111], v[12:13], s[18:19], v[28:29]
	v_mov_b32_e32 v97, v99
	v_pk_add_f32 v[78:79], v[78:79], v[96:97]
	v_pk_mul_f32 v[96:97], v[22:23], s[28:29]
	v_pk_mul_f32 v[46:47], v[46:47], s[24:25]
	v_pk_fma_f32 v[100:101], v[8:9], s[12:13], v[96:97] neg_lo:[1,0,0] neg_hi:[1,0,0]
	v_pk_fma_f32 v[102:103], v[8:9], s[12:13], v[96:97]
	v_mov_b32_e32 v109, v111
	v_mov_b32_e32 v101, v103
	v_pk_add_f32 v[78:79], v[78:79], v[100:101]
	v_pk_mul_f32 v[100:101], v[24:25], s[38:39]
	v_pk_fma_f32 v[112:113], v[10:11], s[10:11], v[46:47]
	v_pk_fma_f32 v[104:105], v[6:7], s[26:27], v[100:101] neg_lo:[1,0,0] neg_hi:[1,0,0]
	v_pk_fma_f32 v[106:107], v[6:7], s[26:27], v[100:101]
	v_pk_mul_f32 v[22:23], v[22:23], s[38:39]
	v_mov_b32_e32 v105, v107
	v_pk_add_f32 v[78:79], v[78:79], v[104:105]
	global_store_dwordx2 v[2:3], v[78:79], off offset:2816
	v_pk_fma_f32 v[78:79], v[4:5], s[12:13], v[36:37] neg_lo:[1,0,0] neg_hi:[1,0,0]
	v_pk_fma_f32 v[104:105], v[4:5], s[12:13], v[36:37]
	v_pk_fma_f32 v[36:37], v[4:5], s[12:13], v[36:37] neg_lo:[0,0,1] neg_hi:[0,0,1]
	v_mov_b32_e32 v79, v105
	v_pk_add_f32 v[78:79], v[78:79], v[0:1]
	v_pk_fma_f32 v[114:115], v[8:9], s[26:27], v[22:23]
	v_pk_add_f32 v[78:79], v[78:79], v[108:109]
	v_pk_fma_f32 v[108:109], v[10:11], s[10:11], v[46:47] neg_lo:[1,0,0] neg_hi:[1,0,0]
	v_mov_b32_e32 v105, v37
	v_mov_b32_e32 v109, v113
	v_pk_add_f32 v[78:79], v[78:79], v[108:109]
	v_pk_fma_f32 v[108:109], v[8:9], s[26:27], v[22:23] neg_lo:[1,0,0] neg_hi:[1,0,0]
	v_pk_fma_f32 v[28:29], v[12:13], s[18:19], v[28:29] neg_lo:[0,0,1] neg_hi:[0,0,1]
	v_pk_mul_f32 v[24:25], v[24:25], s[22:23]
	v_mov_b32_e32 v109, v115
	v_pk_add_f32 v[36:37], v[104:105], v[0:1]
	v_mov_b32_e32 v111, v29
	v_pk_add_f32 v[78:79], v[78:79], v[108:109]
	v_pk_fma_f32 v[108:109], v[6:7], s[8:9], v[24:25] neg_lo:[1,0,0] neg_hi:[1,0,0]
	v_pk_fma_f32 v[116:117], v[6:7], s[8:9], v[24:25]
	v_pk_add_f32 v[28:29], v[36:37], v[110:111]
	v_pk_fma_f32 v[36:37], v[10:11], s[10:11], v[46:47] neg_lo:[0,0,1] neg_hi:[0,0,1]
	v_mov_b32_e32 v109, v117
	v_mov_b32_e32 v113, v37
	v_pk_fma_f32 v[22:23], v[8:9], s[26:27], v[22:23] neg_lo:[0,0,1] neg_hi:[0,0,1]
	v_pk_add_f32 v[78:79], v[78:79], v[108:109]
	v_pk_add_f32 v[28:29], v[28:29], v[112:113]
	v_mov_b32_e32 v115, v23
	v_pk_fma_f32 v[24:25], v[6:7], s[8:9], v[24:25] neg_lo:[0,0,1] neg_hi:[0,0,1]
	global_store_dwordx2 v[2:3], v[78:79], off offset:3520
	v_pk_add_f32 v[22:23], v[28:29], v[114:115]
	v_mov_b32_e32 v117, v25
	v_add_co_u32_e32 v2, vcc, s33, v2
	v_pk_add_f32 v[22:23], v[22:23], v[116:117]
	s_nop 0
	v_addc_co_u32_e32 v3, vcc, 0, v3, vcc
	global_store_dwordx2 v[2:3], v[22:23], off offset:128
	v_pk_fma_f32 v[22:23], v[4:5], s[10:11], v[74:75] neg_lo:[0,0,1] neg_hi:[0,0,1]
	v_pk_fma_f32 v[24:25], v[12:13], s[16:17], v[90:91] neg_lo:[0,0,1] neg_hi:[0,0,1]
	v_mov_b32_e32 v89, v23
	v_pk_add_f32 v[22:23], v[88:89], v[0:1]
	v_mov_b32_e32 v95, v25
	v_pk_fma_f32 v[24:25], v[10:11], s[2:3], v[92:93] neg_lo:[0,0,1] neg_hi:[0,0,1]
	v_pk_add_f32 v[22:23], v[22:23], v[94:95]
	v_mov_b32_e32 v99, v25
	v_pk_fma_f32 v[24:25], v[8:9], s[12:13], v[96:97] neg_lo:[0,0,1] neg_hi:[0,0,1]
	;; [unrolled: 3-line block ×3, first 2 shown]
	v_pk_add_f32 v[22:23], v[22:23], v[102:103]
	v_mov_b32_e32 v107, v25
	v_pk_add_f32 v[22:23], v[22:23], v[106:107]
	global_store_dwordx2 v[2:3], v[22:23], off offset:832
	v_pk_fma_f32 v[22:23], v[4:5], s[8:9], v[32:33] neg_lo:[0,0,1] neg_hi:[0,0,1]
	v_pk_fma_f32 v[24:25], v[12:13], s[14:15], v[64:65] neg_lo:[0,0,1] neg_hi:[0,0,1]
	v_mov_b32_e32 v77, v23
	v_pk_add_f32 v[22:23], v[76:77], v[0:1]
	v_mov_b32_e32 v81, v25
	v_pk_fma_f32 v[24:25], v[10:11], s[26:27], v[68:69] neg_lo:[0,0,1] neg_hi:[0,0,1]
	v_pk_add_f32 v[22:23], v[22:23], v[80:81]
	v_mov_b32_e32 v83, v25
	v_pk_fma_f32 v[24:25], v[8:9], s[2:3], v[70:71] neg_lo:[0,0,1] neg_hi:[0,0,1]
	;; [unrolled: 3-line block ×3, first 2 shown]
	v_pk_add_f32 v[22:23], v[22:23], v[84:85]
	v_mov_b32_e32 v87, v25
	v_pk_add_f32 v[22:23], v[22:23], v[86:87]
	global_store_dwordx2 v[2:3], v[22:23], off offset:1536
	v_pk_fma_f32 v[22:23], v[4:5], s[6:7], v[26:27] neg_lo:[0,0,1] neg_hi:[0,0,1]
	v_pk_fma_f32 v[4:5], v[4:5], s[2:3], v[14:15] neg_lo:[0,0,1] neg_hi:[0,0,1]
	v_mov_b32_e32 v45, v23
	v_pk_fma_f32 v[24:25], v[12:13], s[10:11], v[50:51] neg_lo:[0,0,1] neg_hi:[0,0,1]
	v_mov_b32_e32 v31, v5
	v_pk_fma_f32 v[4:5], v[12:13], s[6:7], v[48:49] neg_lo:[0,0,1] neg_hi:[0,0,1]
	v_pk_add_f32 v[22:23], v[44:45], v[0:1]
	v_mov_b32_e32 v55, v25
	v_pk_fma_f32 v[24:25], v[10:11], s[14:15], v[52:53] neg_lo:[0,0,1] neg_hi:[0,0,1]
	v_pk_add_f32 v[0:1], v[30:31], v[0:1]
	;; [unrolled: 3-line block ×7, first 2 shown]
	v_mov_b32_e32 v67, v25
	v_pk_add_f32 v[0:1], v[0:1], v[40:41]
	v_mov_b32_e32 v43, v5
	v_pk_add_f32 v[22:23], v[22:23], v[66:67]
	v_pk_add_f32 v[0:1], v[0:1], v[42:43]
	global_store_dwordx2 v[2:3], v[22:23], off offset:2240
	global_store_dwordx2 v[2:3], v[0:1], off offset:2944
.LBB0_25:
	s_endpgm
	.section	.rodata,"a",@progbits
	.p2align	6, 0x0
	.amdhsa_kernel fft_rtc_fwd_len968_factors_2_2_2_11_11_wgs_176_tpt_88_sp_ip_CI_unitstride_sbrr_dirReg
		.amdhsa_group_segment_fixed_size 0
		.amdhsa_private_segment_fixed_size 0
		.amdhsa_kernarg_size 88
		.amdhsa_user_sgpr_count 2
		.amdhsa_user_sgpr_dispatch_ptr 0
		.amdhsa_user_sgpr_queue_ptr 0
		.amdhsa_user_sgpr_kernarg_segment_ptr 1
		.amdhsa_user_sgpr_dispatch_id 0
		.amdhsa_user_sgpr_kernarg_preload_length 0
		.amdhsa_user_sgpr_kernarg_preload_offset 0
		.amdhsa_user_sgpr_private_segment_size 0
		.amdhsa_uses_dynamic_stack 0
		.amdhsa_enable_private_segment 0
		.amdhsa_system_sgpr_workgroup_id_x 1
		.amdhsa_system_sgpr_workgroup_id_y 0
		.amdhsa_system_sgpr_workgroup_id_z 0
		.amdhsa_system_sgpr_workgroup_info 0
		.amdhsa_system_vgpr_workitem_id 0
		.amdhsa_next_free_vgpr 129
		.amdhsa_next_free_sgpr 44
		.amdhsa_accum_offset 132
		.amdhsa_reserve_vcc 1
		.amdhsa_float_round_mode_32 0
		.amdhsa_float_round_mode_16_64 0
		.amdhsa_float_denorm_mode_32 3
		.amdhsa_float_denorm_mode_16_64 3
		.amdhsa_dx10_clamp 1
		.amdhsa_ieee_mode 1
		.amdhsa_fp16_overflow 0
		.amdhsa_tg_split 0
		.amdhsa_exception_fp_ieee_invalid_op 0
		.amdhsa_exception_fp_denorm_src 0
		.amdhsa_exception_fp_ieee_div_zero 0
		.amdhsa_exception_fp_ieee_overflow 0
		.amdhsa_exception_fp_ieee_underflow 0
		.amdhsa_exception_fp_ieee_inexact 0
		.amdhsa_exception_int_div_zero 0
	.end_amdhsa_kernel
	.text
.Lfunc_end0:
	.size	fft_rtc_fwd_len968_factors_2_2_2_11_11_wgs_176_tpt_88_sp_ip_CI_unitstride_sbrr_dirReg, .Lfunc_end0-fft_rtc_fwd_len968_factors_2_2_2_11_11_wgs_176_tpt_88_sp_ip_CI_unitstride_sbrr_dirReg
                                        ; -- End function
	.section	.AMDGPU.csdata,"",@progbits
; Kernel info:
; codeLenInByte = 7468
; NumSgprs: 50
; NumVgprs: 129
; NumAgprs: 0
; TotalNumVgprs: 129
; ScratchSize: 0
; MemoryBound: 0
; FloatMode: 240
; IeeeMode: 1
; LDSByteSize: 0 bytes/workgroup (compile time only)
; SGPRBlocks: 6
; VGPRBlocks: 16
; NumSGPRsForWavesPerEU: 50
; NumVGPRsForWavesPerEU: 129
; AccumOffset: 132
; Occupancy: 3
; WaveLimiterHint : 1
; COMPUTE_PGM_RSRC2:SCRATCH_EN: 0
; COMPUTE_PGM_RSRC2:USER_SGPR: 2
; COMPUTE_PGM_RSRC2:TRAP_HANDLER: 0
; COMPUTE_PGM_RSRC2:TGID_X_EN: 1
; COMPUTE_PGM_RSRC2:TGID_Y_EN: 0
; COMPUTE_PGM_RSRC2:TGID_Z_EN: 0
; COMPUTE_PGM_RSRC2:TIDIG_COMP_CNT: 0
; COMPUTE_PGM_RSRC3_GFX90A:ACCUM_OFFSET: 32
; COMPUTE_PGM_RSRC3_GFX90A:TG_SPLIT: 0
	.text
	.p2alignl 6, 3212836864
	.fill 256, 4, 3212836864
	.type	__hip_cuid_705132433db4e2be,@object ; @__hip_cuid_705132433db4e2be
	.section	.bss,"aw",@nobits
	.globl	__hip_cuid_705132433db4e2be
__hip_cuid_705132433db4e2be:
	.byte	0                               ; 0x0
	.size	__hip_cuid_705132433db4e2be, 1

	.ident	"AMD clang version 19.0.0git (https://github.com/RadeonOpenCompute/llvm-project roc-6.4.0 25133 c7fe45cf4b819c5991fe208aaa96edf142730f1d)"
	.section	".note.GNU-stack","",@progbits
	.addrsig
	.addrsig_sym __hip_cuid_705132433db4e2be
	.amdgpu_metadata
---
amdhsa.kernels:
  - .agpr_count:     0
    .args:
      - .actual_access:  read_only
        .address_space:  global
        .offset:         0
        .size:           8
        .value_kind:     global_buffer
      - .offset:         8
        .size:           8
        .value_kind:     by_value
      - .actual_access:  read_only
        .address_space:  global
        .offset:         16
        .size:           8
        .value_kind:     global_buffer
      - .actual_access:  read_only
        .address_space:  global
        .offset:         24
        .size:           8
        .value_kind:     global_buffer
      - .offset:         32
        .size:           8
        .value_kind:     by_value
      - .actual_access:  read_only
        .address_space:  global
        .offset:         40
        .size:           8
        .value_kind:     global_buffer
      - .actual_access:  read_only
        .address_space:  global
        .offset:         48
        .size:           8
        .value_kind:     global_buffer
      - .offset:         56
        .size:           4
        .value_kind:     by_value
      - .actual_access:  read_only
        .address_space:  global
        .offset:         64
        .size:           8
        .value_kind:     global_buffer
      - .actual_access:  read_only
        .address_space:  global
        .offset:         72
        .size:           8
        .value_kind:     global_buffer
      - .address_space:  global
        .offset:         80
        .size:           8
        .value_kind:     global_buffer
    .group_segment_fixed_size: 0
    .kernarg_segment_align: 8
    .kernarg_segment_size: 88
    .language:       OpenCL C
    .language_version:
      - 2
      - 0
    .max_flat_workgroup_size: 176
    .name:           fft_rtc_fwd_len968_factors_2_2_2_11_11_wgs_176_tpt_88_sp_ip_CI_unitstride_sbrr_dirReg
    .private_segment_fixed_size: 0
    .sgpr_count:     50
    .sgpr_spill_count: 0
    .symbol:         fft_rtc_fwd_len968_factors_2_2_2_11_11_wgs_176_tpt_88_sp_ip_CI_unitstride_sbrr_dirReg.kd
    .uniform_work_group_size: 1
    .uses_dynamic_stack: false
    .vgpr_count:     129
    .vgpr_spill_count: 0
    .wavefront_size: 64
amdhsa.target:   amdgcn-amd-amdhsa--gfx950
amdhsa.version:
  - 1
  - 2
...

	.end_amdgpu_metadata
